;; amdgpu-corpus repo=ROCm/rocFFT kind=compiled arch=gfx950 opt=O3
	.text
	.amdgcn_target "amdgcn-amd-amdhsa--gfx950"
	.amdhsa_code_object_version 6
	.protected	bluestein_single_back_len1215_dim1_sp_op_CI_CI ; -- Begin function bluestein_single_back_len1215_dim1_sp_op_CI_CI
	.globl	bluestein_single_back_len1215_dim1_sp_op_CI_CI
	.p2align	8
	.type	bluestein_single_back_len1215_dim1_sp_op_CI_CI,@function
bluestein_single_back_len1215_dim1_sp_op_CI_CI: ; @bluestein_single_back_len1215_dim1_sp_op_CI_CI
; %bb.0:
	s_load_dwordx4 s[12:15], s[0:1], 0x28
	v_mul_u32_u24_e32 v1, 0x10e, v0
	v_mov_b32_e32 v43, 0
	v_add_u32_sdwa v44, s2, v1 dst_sel:DWORD dst_unused:UNUSED_PAD src0_sel:DWORD src1_sel:WORD_1
	v_mov_b32_e32 v45, v43
	s_waitcnt lgkmcnt(0)
	v_cmp_gt_u64_e32 vcc, s[12:13], v[44:45]
	s_and_saveexec_b64 s[2:3], vcc
	s_cbranch_execz .LBB0_42
; %bb.1:
	s_load_dwordx4 s[4:7], s[0:1], 0x18
	s_load_dwordx4 s[8:11], s[0:1], 0x0
	v_mov_b32_e32 v2, s14
	v_mov_b32_e32 v3, s15
	s_movk_i32 s2, 0xf3
	s_waitcnt lgkmcnt(0)
	s_load_dwordx4 s[12:15], s[4:5], 0x0
	v_mul_lo_u16_sdwa v1, v1, s2 dst_sel:DWORD dst_unused:UNUSED_PAD src0_sel:WORD_1 src1_sel:DWORD
	v_sub_u16_e32 v42, v0, v1
	v_mov_b32_e32 v14, 0x798
	v_lshlrev_b32_e32 v40, 3, v42
	s_waitcnt lgkmcnt(0)
	v_mad_u64_u32 v[0:1], s[2:3], s14, v44, 0
	v_mov_b32_e32 v4, v1
	v_mad_u64_u32 v[4:5], s[2:3], s15, v44, v[4:5]
	v_mov_b32_e32 v1, v4
	v_mad_u64_u32 v[4:5], s[2:3], s12, v42, 0
	v_mov_b32_e32 v6, v5
	v_mad_u64_u32 v[6:7], s[2:3], s13, v42, v[6:7]
	v_mov_b32_e32 v5, v6
	v_lshl_add_u64 v[0:1], v[0:1], 3, v[2:3]
	v_lshl_add_u64 v[0:1], v[4:5], 3, v[0:1]
	global_load_dwordx2 v[2:3], v[0:1], off
	v_mad_u64_u32 v[0:1], s[2:3], s12, v14, v[0:1]
	s_mul_i32 s4, s13, 0x798
	v_add_u32_e32 v1, s4, v1
	v_mad_u64_u32 v[6:7], s[2:3], s12, v14, v[0:1]
	v_add_u32_e32 v7, s4, v7
	v_mov_b32_e32 v41, v43
	v_mad_u64_u32 v[8:9], s[2:3], s12, v14, v[6:7]
	v_lshl_add_u64 v[4:5], s[8:9], 0, v[40:41]
	s_movk_i32 s2, 0x1000
	global_load_dwordx2 v[54:55], v40, s[8:9]
	global_load_dwordx2 v[52:53], v40, s[8:9] offset:1944
	global_load_dwordx2 v[48:49], v40, s[8:9] offset:3888
	v_add_co_u32_e32 v4, vcc, s2, v4
	global_load_dwordx2 v[0:1], v[0:1], off
	s_nop 0
	v_addc_co_u32_e32 v5, vcc, 0, v5, vcc
	v_add_u32_e32 v9, s4, v9
	global_load_dwordx2 v[10:11], v[6:7], off
	global_load_dwordx2 v[12:13], v[8:9], off
	global_load_dwordx2 v[50:51], v[4:5], off offset:1736
	v_mad_u64_u32 v[6:7], s[2:3], s12, v14, v[8:9]
	v_add_u32_e32 v7, s4, v7
	global_load_dwordx2 v[46:47], v[4:5], off offset:3680
	global_load_dwordx2 v[8:9], v[6:7], off
	v_add_u32_e32 v6, 0xf00, v40
	s_load_dwordx4 s[4:7], s[6:7], 0x0
	s_mov_b32 s2, 0x3f167918
	s_load_dwordx2 s[12:13], s[0:1], 0x38
	s_mov_b32 s0, 0x3f737871
	s_mov_b32 s14, 0x3e9e377a
	s_waitcnt vmcnt(8)
	v_mul_f32_e32 v4, v3, v55
	v_mul_f32_e32 v5, v2, v55
	v_fmac_f32_e32 v4, v2, v54
	v_fma_f32 v5, v3, v54, -v5
	s_waitcnt vmcnt(5)
	v_mul_f32_e32 v2, v1, v53
	v_mul_f32_e32 v3, v0, v53
	v_fmac_f32_e32 v2, v0, v52
	v_fma_f32 v3, v1, v52, -v3
	ds_write2_b64 v40, v[4:5], v[2:3] offset1:243
	s_waitcnt vmcnt(4)
	v_mul_f32_e32 v0, v11, v49
	v_mul_f32_e32 v1, v10, v49
	s_waitcnt vmcnt(2)
	v_mul_f32_e32 v2, v13, v51
	v_mul_f32_e32 v3, v12, v51
	v_fmac_f32_e32 v0, v10, v48
	v_fma_f32 v1, v11, v48, -v1
	v_fmac_f32_e32 v2, v12, v50
	v_fma_f32 v3, v13, v50, -v3
	ds_write2_b64 v6, v[0:1], v[2:3] offset0:6 offset1:249
	s_waitcnt vmcnt(0)
	v_mul_f32_e32 v0, v9, v47
	v_mul_f32_e32 v1, v8, v47
	v_fmac_f32_e32 v0, v8, v46
	v_fma_f32 v1, v9, v46, -v1
	ds_write_b64 v40, v[0:1] offset:7776
	s_waitcnt lgkmcnt(0)
	s_barrier
	ds_read2_b64 v[0:3], v40 offset1:243
	ds_read_b64 v[12:13], v40 offset:7776
	ds_read2_b64 v[4:7], v6 offset0:6 offset1:249
	s_waitcnt lgkmcnt(0)
	s_barrier
	v_pk_add_f32 v[8:9], v[2:3], v[12:13] neg_lo:[0,1] neg_hi:[0,1]
	v_pk_add_f32 v[10:11], v[4:5], v[6:7] neg_lo:[0,1] neg_hi:[0,1]
	v_pk_add_f32 v[14:15], v[2:3], v[12:13]
	v_pk_add_f32 v[16:17], v[4:5], v[2:3] neg_lo:[0,1] neg_hi:[0,1]
	v_pk_add_f32 v[18:19], v[6:7], v[12:13] neg_lo:[0,1] neg_hi:[0,1]
	v_pk_add_f32 v[20:21], v[4:5], v[6:7]
	v_pk_add_f32 v[22:23], v[2:3], v[4:5] neg_lo:[0,1] neg_hi:[0,1]
	v_pk_add_f32 v[24:25], v[12:13], v[6:7] neg_lo:[0,1] neg_hi:[0,1]
	v_pk_fma_f32 v[14:15], v[14:15], 0.5, v[0:1] op_sel_hi:[1,0,1] neg_lo:[1,0,0] neg_hi:[1,0,0]
	v_pk_mul_f32 v[26:27], v[10:11], s[0:1] op_sel_hi:[1,0]
	v_pk_mul_f32 v[28:29], v[8:9], s[2:3] op_sel_hi:[1,0]
	v_pk_add_f32 v[16:17], v[16:17], v[18:19]
	v_pk_fma_f32 v[18:19], v[20:21], 0.5, v[0:1] op_sel_hi:[1,0,1] neg_lo:[1,0,0] neg_hi:[1,0,0]
	v_pk_mul_f32 v[8:9], v[8:9], s[0:1] op_sel_hi:[1,0]
	v_pk_mul_f32 v[10:11], v[10:11], s[2:3] op_sel_hi:[1,0]
	v_pk_add_f32 v[20:21], v[22:23], v[24:25]
	v_pk_add_f32 v[22:23], v[18:19], v[8:9] op_sel:[0,1] op_sel_hi:[1,0] neg_lo:[0,1] neg_hi:[0,1]
	v_pk_add_f32 v[8:9], v[18:19], v[8:9] op_sel:[0,1] op_sel_hi:[1,0]
	v_pk_add_f32 v[18:19], v[14:15], v[26:27] op_sel:[0,1] op_sel_hi:[1,0]
	v_pk_add_f32 v[14:15], v[14:15], v[26:27] op_sel:[0,1] op_sel_hi:[1,0] neg_lo:[0,1] neg_hi:[0,1]
	v_pk_add_f32 v[0:1], v[0:1], v[2:3]
	v_pk_add_f32 v[24:25], v[8:9], v[10:11] op_sel:[0,1] op_sel_hi:[1,0]
	v_pk_add_f32 v[22:23], v[22:23], v[10:11] op_sel:[0,1] op_sel_hi:[1,0] neg_lo:[0,1] neg_hi:[0,1]
	v_pk_add_f32 v[14:15], v[14:15], v[28:29] op_sel:[0,1] op_sel_hi:[1,0]
	v_pk_add_f32 v[0:1], v[0:1], v[4:5]
	v_pk_add_f32 v[18:19], v[18:19], v[28:29] op_sel:[0,1] op_sel_hi:[1,0] neg_lo:[0,1] neg_hi:[0,1]
	v_mov_b32_e32 v9, v25
	v_mov_b32_e32 v27, v15
	v_mul_lo_u16_e32 v15, 5, v42
	v_pk_add_f32 v[0:1], v[0:1], v[6:7]
	v_mov_b32_e32 v25, v23
	v_mov_b32_e32 v8, v22
	;; [unrolled: 1-line block ×3, first 2 shown]
	v_lshlrev_b32_e32 v41, 3, v15
	v_pk_add_f32 v[0:1], v[0:1], v[12:13]
	v_pk_fma_f32 v[2:3], v[20:21], s[14:15], v[24:25] op_sel_hi:[1,0,1]
	v_mov_b32_e32 v15, v19
	v_pk_fma_f32 v[10:11], v[20:21], s[14:15], v[8:9] op_sel_hi:[1,0,1]
	v_pk_fma_f32 v[8:9], v[16:17], s[14:15], v[26:27] op_sel_hi:[1,0,1]
	ds_write2_b64 v41, v[0:1], v[2:3] offset1:1
	v_pk_fma_f32 v[0:1], v[16:17], s[14:15], v[14:15] op_sel_hi:[1,0,1]
	ds_write2_b64 v41, v[0:1], v[8:9] offset0:2 offset1:3
	ds_write_b64 v41, v[10:11] offset:32
	s_waitcnt lgkmcnt(0)
	s_barrier
	ds_read_b64 v[12:13], v40
	ds_read_b64 v[16:17], v40 offset:3240
	ds_read_b64 v[14:15], v40 offset:6480
	s_movk_i32 s0, 0xa1
	s_movk_i32 s2, 0xa2
	v_cmp_lt_u16_e64 s[0:1], s0, v42
	v_cmp_gt_u16_e32 vcc, s2, v42
                                        ; implicit-def: $vgpr18
                                        ; implicit-def: $vgpr20
	s_and_saveexec_b64 s[2:3], vcc
	s_cbranch_execz .LBB0_3
; %bb.2:
	ds_read_b64 v[18:19], v40 offset:8424
	ds_read_b64 v[8:9], v40 offset:1944
	;; [unrolled: 1-line block ×3, first 2 shown]
	s_waitcnt lgkmcnt(2)
	v_mov_b32_e32 v20, v19
.LBB0_3:
	s_or_b64 exec, exec, s[2:3]
	s_mov_b64 s[2:3], 0xf3
	v_lshl_add_u64 v[32:33], v[42:43], 0, s[2:3]
	s_movk_i32 s2, 0xcd
	v_mul_lo_u16_sdwa v0, v42, s2 dst_sel:DWORD dst_unused:UNUSED_PAD src0_sel:BYTE_0 src1_sel:DWORD
	s_mov_b32 s2, 0xcccd
	v_lshrrev_b16_e32 v19, 10, v0
	v_mul_u32_u24_sdwa v1, v32, s2 dst_sel:DWORD dst_unused:UNUSED_PAD src0_sel:WORD_0 src1_sel:DWORD
	v_mul_lo_u16_e32 v0, 5, v19
	v_lshrrev_b32_e32 v30, 18, v1
	v_sub_u16_e32 v0, v42, v0
	v_mul_lo_u16_e32 v1, 5, v30
	v_and_b32_e32 v21, 0xff, v0
	v_sub_u16_e32 v31, v32, v1
	v_lshlrev_b32_e32 v0, 4, v21
	v_lshlrev_b16_e32 v1, 1, v31
	global_load_dwordx4 v[4:7], v0, s[10:11]
	v_lshlrev_b32_e32 v0, 3, v1
	global_load_dwordx4 v[0:3], v0, s[10:11]
	v_mul_u32_u24_e32 v19, 15, v19
	v_add_lshl_u32 v45, v19, v21, 3
	s_mov_b32 s2, 0x3f5db3d7
	v_mad_legacy_u16 v73, v30, 15, v31
	s_waitcnt lgkmcnt(0)
	s_barrier
	s_waitcnt vmcnt(1)
	v_pk_mul_f32 v[22:23], v[16:17], v[4:5] op_sel:[0,1]
	v_mov_b32_e32 v24, v7
	s_waitcnt vmcnt(0)
	v_pk_mul_f32 v[26:27], v[10:11], v[0:1] op_sel:[1,0]
	v_pk_mul_f32 v[20:21], v[20:21], v[2:3] op_sel_hi:[0,1]
	v_pk_fma_f32 v[28:29], v[16:17], v[4:5], v[22:23] op_sel:[0,0,1] op_sel_hi:[1,1,0] neg_lo:[0,0,1] neg_hi:[0,0,1]
	v_pk_fma_f32 v[16:17], v[16:17], v[4:5], v[22:23] op_sel:[0,0,1] op_sel_hi:[1,0,0]
	v_pk_mul_f32 v[22:23], v[14:15], v[24:25] op_sel_hi:[1,0]
	v_pk_fma_f32 v[24:25], v[10:11], v[0:1], v[26:27] op_sel:[0,0,1] op_sel_hi:[1,1,0] neg_lo:[0,0,1] neg_hi:[0,0,1]
	v_pk_fma_f32 v[10:11], v[10:11], v[0:1], v[26:27] op_sel:[0,0,1] op_sel_hi:[0,1,0]
	v_pk_fma_f32 v[26:27], v[18:19], v[2:3], v[20:21] op_sel:[0,0,1] op_sel_hi:[1,1,0] neg_lo:[0,0,1] neg_hi:[0,0,1]
	v_pk_fma_f32 v[18:19], v[18:19], v[2:3], v[20:21] op_sel:[0,0,1] op_sel_hi:[0,1,0]
	v_mov_b32_e32 v29, v17
	v_pk_fma_f32 v[16:17], v[14:15], v[6:7], v[22:23] op_sel:[0,0,1] op_sel_hi:[1,1,0] neg_lo:[0,0,1] neg_hi:[0,0,1]
	v_pk_fma_f32 v[14:15], v[14:15], v[6:7], v[22:23] op_sel:[0,0,1] op_sel_hi:[1,0,0]
	v_mov_b32_e32 v25, v11
	v_mov_b32_e32 v27, v19
	;; [unrolled: 1-line block ×3, first 2 shown]
	v_pk_add_f32 v[10:11], v[12:13], v[28:29]
	v_pk_add_f32 v[14:15], v[8:9], v[24:25]
	;; [unrolled: 1-line block ×3, first 2 shown]
	v_pk_add_f32 v[20:21], v[24:25], v[26:27] neg_lo:[0,1] neg_hi:[0,1]
	v_pk_add_f32 v[22:23], v[28:29], v[16:17]
	v_pk_add_f32 v[24:25], v[28:29], v[16:17] neg_lo:[0,1] neg_hi:[0,1]
	v_pk_add_f32 v[10:11], v[10:11], v[16:17]
	v_pk_add_f32 v[16:17], v[14:15], v[26:27]
	v_pk_fma_f32 v[8:9], v[18:19], 0.5, v[8:9] op_sel_hi:[1,0,1] neg_lo:[1,0,0] neg_hi:[1,0,0]
	v_pk_mul_f32 v[14:15], v[20:21], s[2:3] op_sel_hi:[1,0]
	v_pk_fma_f32 v[12:13], v[22:23], 0.5, v[12:13] op_sel_hi:[1,0,1] neg_lo:[1,0,0] neg_hi:[1,0,0]
	v_pk_mul_f32 v[18:19], v[24:25], s[2:3] op_sel_hi:[1,0]
	v_pk_add_f32 v[20:21], v[8:9], v[14:15] op_sel:[0,1] op_sel_hi:[1,0] neg_lo:[0,1] neg_hi:[0,1]
	v_pk_add_f32 v[22:23], v[14:15], v[8:9] op_sel:[1,0] op_sel_hi:[0,1]
	v_pk_add_f32 v[8:9], v[12:13], v[18:19] op_sel:[0,1] op_sel_hi:[1,0]
	v_pk_add_f32 v[12:13], v[12:13], v[18:19] op_sel:[0,1] op_sel_hi:[1,0] neg_lo:[0,1] neg_hi:[0,1]
	v_mov_b32_e32 v14, v8
	v_mov_b32_e32 v15, v13
	;; [unrolled: 1-line block ×3, first 2 shown]
	ds_write2_b64 v45, v[10:11], v[14:15] offset1:5
	ds_write_b64 v45, v[12:13] offset:80
	s_and_saveexec_b64 s[2:3], vcc
	s_cbranch_execz .LBB0_5
; %bb.4:
	v_lshlrev_b32_e32 v10, 3, v73
	v_mov_b32_e32 v8, v22
	v_mov_b32_e32 v9, v21
	ds_write2_b64 v10, v[16:17], v[8:9] offset1:5
	v_mov_b32_e32 v8, v20
	v_mov_b32_e32 v9, v23
	ds_write_b64 v10, v[8:9] offset:80
.LBB0_5:
	s_or_b64 exec, exec, s[2:3]
	s_waitcnt lgkmcnt(0)
	s_barrier
	ds_read_b64 v[18:19], v40
	ds_read_b64 v[26:27], v40 offset:3240
	ds_read_b64 v[24:25], v40 offset:6480
	s_and_saveexec_b64 s[2:3], s[0:1]
	s_xor_b64 s[2:3], exec, s[2:3]
	s_andn2_saveexec_b64 s[2:3], s[2:3]
	s_cbranch_execz .LBB0_7
; %bb.6:
	ds_read_b64 v[8:9], v40 offset:5184
	ds_read_b64 v[20:21], v40 offset:8424
	;; [unrolled: 1-line block ×3, first 2 shown]
	s_waitcnt lgkmcnt(2)
	v_mov_b32_e32 v22, v8
	s_waitcnt lgkmcnt(1)
	v_mov_b32_e32 v23, v21
	v_mov_b32_e32 v21, v9
.LBB0_7:
	s_or_b64 exec, exec, s[2:3]
	s_movk_i32 s2, 0x89
	v_mul_lo_u16_sdwa v8, v42, s2 dst_sel:DWORD dst_unused:UNUSED_PAD src0_sel:BYTE_0 src1_sel:DWORD
	v_lshrrev_b16_e32 v28, 11, v8
	v_mul_lo_u16_e32 v8, 15, v28
	v_sub_u16_e32 v8, v42, v8
	s_mov_b32 s2, 0x8889
	v_and_b32_e32 v29, 0xff, v8
	v_mul_u32_u24_sdwa v8, v32, s2 dst_sel:DWORD dst_unused:UNUSED_PAD src0_sel:WORD_0 src1_sel:DWORD
	v_lshrrev_b32_e32 v56, 19, v8
	v_mul_lo_u16_e32 v8, 15, v56
	v_sub_u16_e32 v57, v32, v8
	v_lshlrev_b16_e32 v8, 4, v57
	v_mov_b32_e32 v9, 0
	v_lshl_add_u64 v[8:9], s[10:11], 0, v[8:9]
	v_lshlrev_b32_e32 v12, 4, v29
	global_load_dwordx4 v[8:11], v[8:9], off offset:80
	v_mul_u32_u24_e32 v28, 45, v28
	global_load_dwordx4 v[12:15], v12, s[10:11] offset:80
	v_add_lshl_u32 v72, v28, v29, 3
	s_mov_b32 s2, 0x3f5db3d7
	v_mad_legacy_u16 v76, v56, 45, v57
	s_waitcnt lgkmcnt(0)
	s_barrier
	s_waitcnt vmcnt(1)
	v_pk_mul_f32 v[28:29], v[22:23], v[8:9] op_sel_hi:[0,1]
	v_pk_mul_f32 v[30:31], v[20:21], v[10:11] op_sel_hi:[0,1]
	s_waitcnt vmcnt(0)
	v_pk_mul_f32 v[34:35], v[26:27], v[12:13] op_sel:[0,1]
	v_mov_b32_e32 v36, v15
	v_pk_fma_f32 v[38:39], v[20:21], v[8:9], v[28:29] op_sel:[1,0,1] op_sel_hi:[1,1,0]
	v_pk_fma_f32 v[20:21], v[20:21], v[8:9], v[28:29] op_sel:[1,0,1] op_sel_hi:[1,1,0] neg_lo:[1,0,0] neg_hi:[1,0,0]
	v_pk_fma_f32 v[28:29], v[22:23], v[10:11], v[30:31] op_sel:[1,0,1] op_sel_hi:[1,1,0]
	v_pk_fma_f32 v[22:23], v[22:23], v[10:11], v[30:31] op_sel:[1,0,1] op_sel_hi:[1,1,0] neg_lo:[1,0,0] neg_hi:[1,0,0]
	v_pk_fma_f32 v[30:31], v[26:27], v[12:13], v[34:35] op_sel:[0,0,1] op_sel_hi:[1,1,0] neg_lo:[0,0,1] neg_hi:[0,0,1]
	v_pk_fma_f32 v[26:27], v[26:27], v[12:13], v[34:35] op_sel:[0,0,1] op_sel_hi:[1,0,0]
	v_pk_mul_f32 v[34:35], v[24:25], v[36:37] op_sel_hi:[1,0]
	v_mov_b32_e32 v39, v21
	v_mov_b32_e32 v29, v23
	;; [unrolled: 1-line block ×7, first 2 shown]
	v_pk_fma_f32 v[26:27], v[24:25], v[14:15], v[34:35] op_sel:[0,0,1] op_sel_hi:[1,1,0] neg_lo:[0,0,1] neg_hi:[0,0,1]
	v_pk_fma_f32 v[24:25], v[24:25], v[14:15], v[34:35] op_sel:[0,0,1] op_sel_hi:[1,0,0]
	v_pk_add_f32 v[34:35], v[20:21], v[22:23]
	v_pk_add_f32 v[20:21], v[16:17], v[20:21]
	v_mov_b32_e32 v27, v25
	v_pk_add_f32 v[28:29], v[38:39], v[28:29] neg_lo:[0,1] neg_hi:[0,1]
	v_pk_add_f32 v[36:37], v[18:19], v[30:31]
	v_pk_fma_f32 v[16:17], v[34:35], 0.5, v[16:17] op_sel_hi:[1,0,1] neg_lo:[1,0,0] neg_hi:[1,0,0]
	v_pk_add_f32 v[24:25], v[20:21], v[22:23]
	v_pk_add_f32 v[22:23], v[30:31], v[26:27]
	v_pk_add_f32 v[34:35], v[30:31], v[26:27] neg_lo:[0,1] neg_hi:[0,1]
	v_pk_add_f32 v[20:21], v[36:37], v[26:27]
	v_pk_fma_f32 v[26:27], v[28:29], s[2:3], v[16:17] op_sel_hi:[1,0,1] neg_lo:[1,0,0] neg_hi:[1,0,0]
	v_pk_fma_f32 v[30:31], v[28:29], s[2:3], v[16:17] op_sel_hi:[1,0,1]
	v_pk_fma_f32 v[16:17], v[22:23], 0.5, v[18:19] op_sel_hi:[1,0,1] neg_lo:[1,0,0] neg_hi:[1,0,0]
	v_pk_mul_f32 v[18:19], v[34:35], s[2:3] op_sel_hi:[1,0]
	s_nop 0
	v_pk_add_f32 v[22:23], v[16:17], v[18:19] op_sel:[0,1] op_sel_hi:[1,0]
	v_pk_add_f32 v[16:17], v[16:17], v[18:19] op_sel:[0,1] op_sel_hi:[1,0] neg_lo:[0,1] neg_hi:[0,1]
	v_mov_b32_e32 v18, v22
	v_mov_b32_e32 v19, v17
	;; [unrolled: 1-line block ×3, first 2 shown]
	ds_write2_b64 v72, v[20:21], v[18:19] offset1:15
	ds_write_b64 v72, v[16:17] offset:240
	s_and_saveexec_b64 s[2:3], vcc
	s_cbranch_execz .LBB0_9
; %bb.8:
	v_lshlrev_b32_e32 v18, 3, v76
	v_mov_b32_e32 v16, v30
	v_mov_b32_e32 v17, v27
	ds_write2_b64 v18, v[24:25], v[16:17] offset1:15
	v_mov_b32_e32 v16, v26
	v_mov_b32_e32 v17, v31
	ds_write_b64 v18, v[16:17] offset:240
.LBB0_9:
	s_or_b64 exec, exec, s[2:3]
	s_waitcnt lgkmcnt(0)
	s_barrier
	ds_read_b64 v[28:29], v40
	ds_read_b64 v[36:37], v40 offset:3240
	ds_read_b64 v[34:35], v40 offset:6480
	s_and_saveexec_b64 s[2:3], s[0:1]
	s_xor_b64 s[2:3], exec, s[2:3]
	s_andn2_saveexec_b64 s[2:3], s[2:3]
	s_cbranch_execz .LBB0_11
; %bb.10:
	ds_read_b64 v[16:17], v40 offset:5184
	ds_read_b64 v[26:27], v40 offset:8424
	;; [unrolled: 1-line block ×3, first 2 shown]
	s_waitcnt lgkmcnt(2)
	v_mov_b32_e32 v30, v16
	s_waitcnt lgkmcnt(1)
	v_mov_b32_e32 v31, v27
	v_mov_b32_e32 v27, v17
.LBB0_11:
	s_or_b64 exec, exec, s[2:3]
	s_movk_i32 s2, 0x6d
	v_mul_lo_u16_sdwa v16, v42, s2 dst_sel:DWORD dst_unused:UNUSED_PAD src0_sel:BYTE_0 src1_sel:DWORD
	v_sub_u16_sdwa v17, v42, v16 dst_sel:DWORD dst_unused:UNUSED_PAD src0_sel:DWORD src1_sel:BYTE_1
	v_lshrrev_b16_e32 v17, 1, v17
	v_and_b32_e32 v17, 0x7f, v17
	v_add_u16_sdwa v16, v17, v16 dst_sel:DWORD dst_unused:UNUSED_PAD src0_sel:DWORD src1_sel:BYTE_1
	v_lshrrev_b16_e32 v38, 5, v16
	v_mul_lo_u16_e32 v16, 45, v38
	v_sub_u16_e32 v16, v42, v16
	s_movk_i32 s2, 0x2d83
	v_and_b32_e32 v39, 0xff, v16
	v_mul_u32_u24_sdwa v16, v32, s2 dst_sel:DWORD dst_unused:UNUSED_PAD src0_sel:WORD_0 src1_sel:DWORD
	v_lshrrev_b32_e32 v74, 19, v16
	v_mul_lo_u16_e32 v16, 45, v74
	v_sub_u16_e32 v75, v32, v16
	v_lshlrev_b16_e32 v16, 4, v75
	v_mov_b32_e32 v17, 0
	v_lshl_add_u64 v[16:17], s[10:11], 0, v[16:17]
	v_lshlrev_b32_e32 v20, 4, v39
	global_load_dwordx4 v[16:19], v[16:17], off offset:320
	v_mul_u32_u24_e32 v38, 0x87, v38
	global_load_dwordx4 v[20:23], v20, s[10:11] offset:320
	v_add_lshl_u32 v78, v38, v39, 3
	s_mov_b32 s2, 0x3f5db3d7
	s_movk_i32 s14, 0x87
	s_waitcnt lgkmcnt(0)
	s_barrier
	s_waitcnt vmcnt(1)
	v_pk_mul_f32 v[38:39], v[26:27], v[16:17] op_sel:[1,0]
	v_pk_mul_f32 v[56:57], v[30:31], v[18:19] op_sel:[1,0]
	s_waitcnt vmcnt(0)
	v_pk_mul_f32 v[58:59], v[36:37], v[20:21] op_sel:[0,1]
	v_mov_b32_e32 v60, v23
	v_pk_fma_f32 v[62:63], v[30:31], v[16:17], v[38:39] op_sel:[0,0,1] op_sel_hi:[0,1,0]
	v_pk_fma_f32 v[30:31], v[30:31], v[16:17], v[38:39] op_sel:[0,0,1] op_sel_hi:[0,1,0] neg_lo:[0,0,1] neg_hi:[0,0,1]
	v_pk_fma_f32 v[38:39], v[26:27], v[18:19], v[56:57] op_sel:[0,0,1] op_sel_hi:[0,1,0]
	v_pk_fma_f32 v[26:27], v[26:27], v[18:19], v[56:57] op_sel:[0,0,1] op_sel_hi:[0,1,0] neg_lo:[0,0,1] neg_hi:[0,0,1]
	v_pk_fma_f32 v[56:57], v[36:37], v[20:21], v[58:59] op_sel:[0,0,1] op_sel_hi:[1,1,0] neg_lo:[0,0,1] neg_hi:[0,0,1]
	v_pk_fma_f32 v[36:37], v[36:37], v[20:21], v[58:59] op_sel:[0,0,1] op_sel_hi:[1,0,0]
	v_pk_mul_f32 v[58:59], v[34:35], v[60:61] op_sel_hi:[1,0]
	v_mov_b32_e32 v31, v63
	v_mov_b32_e32 v27, v39
	;; [unrolled: 1-line block ×3, first 2 shown]
	v_pk_fma_f32 v[36:37], v[34:35], v[22:23], v[58:59] op_sel:[0,0,1] op_sel_hi:[1,1,0] neg_lo:[0,0,1] neg_hi:[0,0,1]
	v_pk_fma_f32 v[34:35], v[34:35], v[22:23], v[58:59] op_sel:[0,0,1] op_sel_hi:[1,0,0]
	v_pk_add_f32 v[38:39], v[24:25], v[30:31]
	v_pk_add_f32 v[58:59], v[30:31], v[26:27]
	v_pk_add_f32 v[30:31], v[30:31], v[26:27] neg_lo:[0,1] neg_hi:[0,1]
	v_mov_b32_e32 v37, v35
	v_pk_add_f32 v[60:61], v[28:29], v[56:57]
	v_pk_add_f32 v[34:35], v[38:39], v[26:27]
	v_pk_fma_f32 v[24:25], v[58:59], 0.5, v[24:25] op_sel_hi:[1,0,1] neg_lo:[1,0,0] neg_hi:[1,0,0]
	v_pk_mul_f32 v[26:27], v[30:31], s[2:3] op_sel_hi:[1,0]
	v_pk_add_f32 v[58:59], v[56:57], v[36:37]
	v_pk_add_f32 v[56:57], v[56:57], v[36:37] neg_lo:[0,1] neg_hi:[0,1]
	v_pk_add_f32 v[30:31], v[60:61], v[36:37]
	v_pk_add_f32 v[36:37], v[24:25], v[26:27] op_sel:[0,1] op_sel_hi:[1,0] neg_lo:[0,1] neg_hi:[0,1]
	v_pk_add_f32 v[38:39], v[26:27], v[24:25] op_sel:[1,0] op_sel_hi:[0,1]
	v_pk_fma_f32 v[24:25], v[58:59], 0.5, v[28:29] op_sel_hi:[1,0,1] neg_lo:[1,0,0] neg_hi:[1,0,0]
	v_pk_mul_f32 v[26:27], v[56:57], s[2:3] op_sel_hi:[1,0]
	s_nop 0
	v_pk_add_f32 v[28:29], v[24:25], v[26:27] op_sel:[0,1] op_sel_hi:[1,0]
	v_pk_add_f32 v[24:25], v[24:25], v[26:27] op_sel:[0,1] op_sel_hi:[1,0] neg_lo:[0,1] neg_hi:[0,1]
	v_mov_b32_e32 v26, v28
	v_mov_b32_e32 v27, v25
	;; [unrolled: 1-line block ×3, first 2 shown]
	ds_write2_b64 v78, v[30:31], v[26:27] offset1:45
	ds_write_b64 v78, v[24:25] offset:720
	s_and_saveexec_b64 s[2:3], vcc
	s_cbranch_execz .LBB0_13
; %bb.12:
	v_mad_legacy_u16 v24, v74, s14, v75
	v_lshlrev_b32_e32 v26, 3, v24
	v_mov_b32_e32 v24, v38
	v_mov_b32_e32 v25, v37
	ds_write2_b64 v26, v[34:35], v[24:25] offset1:45
	v_mov_b32_e32 v24, v36
	v_mov_b32_e32 v25, v39
	ds_write_b64 v26, v[24:25] offset:720
.LBB0_13:
	s_or_b64 exec, exec, s[2:3]
	s_waitcnt lgkmcnt(0)
	s_barrier
	ds_read_b64 v[56:57], v40
	ds_read_b64 v[60:61], v40 offset:3240
	ds_read_b64 v[58:59], v40 offset:6480
	s_and_saveexec_b64 s[2:3], s[0:1]
	s_xor_b64 s[2:3], exec, s[2:3]
	s_andn2_saveexec_b64 s[2:3], s[2:3]
	s_cbranch_execz .LBB0_15
; %bb.14:
	ds_read_b64 v[24:25], v40 offset:5184
	ds_read_b64 v[36:37], v40 offset:8424
	;; [unrolled: 1-line block ×3, first 2 shown]
	s_waitcnt lgkmcnt(2)
	v_mov_b32_e32 v38, v24
	s_waitcnt lgkmcnt(1)
	v_mov_b32_e32 v39, v37
	v_mov_b32_e32 v37, v25
.LBB0_15:
	s_or_b64 exec, exec, s[2:3]
	s_movk_i32 s2, 0xff79
	s_mov_b32 s3, -1
	v_lshl_add_u64 v[24:25], v[42:43], 0, s[2:3]
	s_movk_i32 s2, 0x87
	v_cmp_gt_u16_e64 s[2:3], s2, v42
	v_mov_b32_e32 v29, 0
	s_mov_b32 s16, 0x3f5db3d7
	v_cndmask_b32_e64 v63, v25, 0, s[2:3]
	v_cndmask_b32_e64 v62, v24, v42, s[2:3]
	s_movk_i32 s2, 0x795d
	v_mul_u32_u24_sdwa v28, v32, s2 dst_sel:DWORD dst_unused:UNUSED_PAD src0_sel:WORD_0 src1_sel:DWORD
	v_lshrrev_b32_e32 v77, 22, v28
	v_mul_lo_u16_e32 v28, 0x87, v77
	v_lshl_add_u64 v[24:25], v[62:63], 4, s[10:11]
	v_sub_u16_e32 v79, v32, v28
	global_load_dwordx4 v[24:27], v[24:25], off offset:1040
	v_lshlrev_b16_e32 v28, 4, v79
	v_lshl_add_u64 v[28:29], s[10:11], 0, v[28:29]
	global_load_dwordx4 v[28:31], v[28:29], off offset:1040
	s_movk_i32 s2, 0x86
	v_mov_b32_e32 v63, 0x195
	v_cmp_lt_u16_e64 s[2:3], s2, v42
	s_movk_i32 s14, 0x195
	s_waitcnt lgkmcnt(0)
	v_cndmask_b32_e64 v63, 0, v63, s[2:3]
	v_add_lshl_u32 v80, v62, v63, 3
	s_barrier
	s_waitcnt vmcnt(1)
	v_pk_mul_f32 v[62:63], v[60:61], v[24:25] op_sel:[0,1]
	v_mov_b32_e32 v64, v27
	v_pk_fma_f32 v[66:67], v[60:61], v[24:25], v[62:63] op_sel:[0,0,1] op_sel_hi:[1,1,0] neg_lo:[0,0,1] neg_hi:[0,0,1]
	v_pk_fma_f32 v[60:61], v[60:61], v[24:25], v[62:63] op_sel:[0,0,1] op_sel_hi:[1,0,0]
	v_pk_mul_f32 v[62:63], v[58:59], v[64:65] op_sel_hi:[1,0]
	v_mov_b32_e32 v67, v61
	v_pk_fma_f32 v[60:61], v[58:59], v[26:27], v[62:63] op_sel:[0,0,1] op_sel_hi:[1,1,0] neg_lo:[0,0,1] neg_hi:[0,0,1]
	v_pk_fma_f32 v[58:59], v[58:59], v[26:27], v[62:63] op_sel:[0,0,1] op_sel_hi:[1,0,0]
	s_waitcnt vmcnt(0)
	v_pk_mul_f32 v[62:63], v[36:37], v[28:29] op_sel:[1,0]
	v_pk_mul_f32 v[64:65], v[38:39], v[30:31] op_sel:[1,0]
	v_mov_b32_e32 v61, v59
	v_pk_add_f32 v[58:59], v[56:57], v[66:67]
	v_pk_fma_f32 v[68:69], v[38:39], v[28:29], v[62:63] op_sel:[0,0,1] op_sel_hi:[0,1,0]
	v_pk_fma_f32 v[38:39], v[38:39], v[28:29], v[62:63] op_sel:[0,0,1] op_sel_hi:[0,1,0] neg_lo:[0,0,1] neg_hi:[0,0,1]
	v_pk_fma_f32 v[62:63], v[36:37], v[30:31], v[64:65] op_sel:[0,0,1] op_sel_hi:[0,1,0]
	v_pk_fma_f32 v[36:37], v[36:37], v[30:31], v[64:65] op_sel:[0,0,1] op_sel_hi:[0,1,0] neg_lo:[0,0,1] neg_hi:[0,0,1]
	v_pk_add_f32 v[64:65], v[58:59], v[60:61]
	v_pk_add_f32 v[58:59], v[66:67], v[60:61]
	v_pk_add_f32 v[60:61], v[66:67], v[60:61] neg_lo:[0,1] neg_hi:[0,1]
	v_mov_b32_e32 v39, v69
	v_mov_b32_e32 v37, v63
	v_pk_fma_f32 v[56:57], v[58:59], 0.5, v[56:57] op_sel_hi:[1,0,1] neg_lo:[1,0,0] neg_hi:[1,0,0]
	v_pk_mul_f32 v[58:59], v[60:61], s[16:17] op_sel_hi:[1,0]
	v_pk_add_f32 v[60:61], v[34:35], v[38:39]
	v_pk_add_f32 v[62:63], v[38:39], v[36:37]
	v_pk_add_f32 v[38:39], v[38:39], v[36:37] neg_lo:[0,1] neg_hi:[0,1]
	v_pk_add_f32 v[66:67], v[56:57], v[58:59] op_sel:[0,1] op_sel_hi:[1,0]
	v_pk_add_f32 v[68:69], v[56:57], v[58:59] op_sel:[0,1] op_sel_hi:[1,0] neg_lo:[0,1] neg_hi:[0,1]
	v_pk_add_f32 v[58:59], v[60:61], v[36:37]
	v_pk_fma_f32 v[34:35], v[62:63], 0.5, v[34:35] op_sel_hi:[1,0,1] neg_lo:[1,0,0] neg_hi:[1,0,0]
	v_pk_mul_f32 v[36:37], v[38:39], s[16:17] op_sel_hi:[1,0]
	v_mov_b32_e32 v38, v66
	v_mov_b32_e32 v39, v69
	v_pk_add_f32 v[56:57], v[34:35], v[36:37] op_sel:[0,1] op_sel_hi:[1,0] neg_lo:[0,1] neg_hi:[0,1]
	v_pk_add_f32 v[60:61], v[36:37], v[34:35] op_sel:[1,0] op_sel_hi:[0,1]
	v_mov_b32_e32 v69, v67
	ds_write2_b64 v80, v[64:65], v[38:39] offset1:135
	ds_write_b64 v80, v[68:69] offset:2160
	s_and_saveexec_b64 s[2:3], vcc
	s_cbranch_execz .LBB0_17
; %bb.16:
	v_mad_legacy_u16 v34, v77, s14, v79
	v_lshlrev_b32_e32 v36, 3, v34
	v_mov_b32_e32 v34, v60
	v_mov_b32_e32 v35, v57
	ds_write2_b64 v36, v[58:59], v[34:35] offset1:135
	v_mov_b32_e32 v34, v56
	v_mov_b32_e32 v35, v61
	ds_write_b64 v36, v[34:35] offset:2160
.LBB0_17:
	s_or_b64 exec, exec, s[2:3]
	s_waitcnt lgkmcnt(0)
	s_barrier
	ds_read_b64 v[62:63], v40
	ds_read_b64 v[66:67], v40 offset:3240
	ds_read_b64 v[64:65], v40 offset:6480
	s_and_saveexec_b64 s[2:3], s[0:1]
	s_xor_b64 s[2:3], exec, s[2:3]
	s_andn2_saveexec_b64 s[2:3], s[2:3]
	s_cbranch_execz .LBB0_19
; %bb.18:
	ds_read_b64 v[34:35], v40 offset:5184
	ds_read_b64 v[56:57], v40 offset:8424
	ds_read_b64 v[58:59], v40 offset:1944
	s_waitcnt lgkmcnt(2)
	v_mov_b32_e32 v60, v34
	s_waitcnt lgkmcnt(1)
	v_mov_b32_e32 v61, v57
	v_mov_b32_e32 v57, v35
.LBB0_19:
	s_or_b64 exec, exec, s[2:3]
	s_movk_i32 s2, 0xff5e
	v_lshlrev_b32_e32 v34, 4, v42
	s_mov_b32 s3, -1
	global_load_dwordx4 v[36:39], v34, s[10:11] offset:3200
	v_lshl_add_u64 v[34:35], v[42:43], 0, s[2:3]
	v_cndmask_b32_e32 v33, v35, v33, vcc
	v_cndmask_b32_e32 v32, v34, v32, vcc
	v_lshl_add_u64 v[32:33], v[32:33], 4, s[10:11]
	global_load_dwordx4 v[32:35], v[32:33], off offset:3200
	s_mov_b32 s2, 0x3f5db3d7
	s_waitcnt vmcnt(1) lgkmcnt(1)
	v_pk_mul_f32 v[68:69], v[66:67], v[36:37] op_sel:[0,1]
	v_mov_b32_e32 v70, v39
	v_pk_fma_f32 v[82:83], v[66:67], v[36:37], v[68:69] op_sel:[0,0,1] op_sel_hi:[1,1,0] neg_lo:[0,0,1] neg_hi:[0,0,1]
	v_pk_fma_f32 v[66:67], v[66:67], v[36:37], v[68:69] op_sel:[0,0,1] op_sel_hi:[1,0,0]
	s_waitcnt lgkmcnt(0)
	v_pk_mul_f32 v[68:69], v[64:65], v[70:71] op_sel_hi:[1,0]
	v_mov_b32_e32 v83, v67
	v_pk_fma_f32 v[66:67], v[64:65], v[38:39], v[68:69] op_sel:[0,0,1] op_sel_hi:[1,1,0] neg_lo:[0,0,1] neg_hi:[0,0,1]
	v_pk_fma_f32 v[64:65], v[64:65], v[38:39], v[68:69] op_sel:[0,0,1] op_sel_hi:[1,0,0]
	s_waitcnt vmcnt(0)
	v_pk_mul_f32 v[68:69], v[56:57], v[32:33] op_sel:[1,0]
	v_pk_mul_f32 v[70:71], v[60:61], v[34:35] op_sel:[1,0]
	v_mov_b32_e32 v67, v65
	v_pk_add_f32 v[84:85], v[62:63], v[82:83]
	v_pk_fma_f32 v[86:87], v[60:61], v[32:33], v[68:69] op_sel:[0,0,1] op_sel_hi:[0,1,0]
	v_pk_fma_f32 v[60:61], v[60:61], v[32:33], v[68:69] op_sel:[0,0,1] op_sel_hi:[0,1,0] neg_lo:[0,0,1] neg_hi:[0,0,1]
	v_pk_fma_f32 v[68:69], v[56:57], v[34:35], v[70:71] op_sel:[0,0,1] op_sel_hi:[0,1,0]
	v_pk_fma_f32 v[64:65], v[56:57], v[34:35], v[70:71] op_sel:[0,0,1] op_sel_hi:[0,1,0] neg_lo:[0,0,1] neg_hi:[0,0,1]
	v_pk_add_f32 v[56:57], v[84:85], v[66:67]
	v_pk_add_f32 v[70:71], v[82:83], v[66:67]
	v_pk_add_f32 v[66:67], v[82:83], v[66:67] neg_lo:[0,1] neg_hi:[0,1]
	v_mov_b32_e32 v61, v87
	v_mov_b32_e32 v65, v69
	ds_write_b64 v40, v[56:57]
	v_pk_fma_f32 v[56:57], v[70:71], 0.5, v[62:63] op_sel_hi:[1,0,1] neg_lo:[1,0,0] neg_hi:[1,0,0]
	v_pk_mul_f32 v[62:63], v[66:67], s[2:3] op_sel_hi:[1,0]
	v_pk_add_f32 v[66:67], v[60:61], v[64:65]
	v_pk_add_f32 v[68:69], v[60:61], v[64:65] neg_lo:[0,1] neg_hi:[0,1]
	v_pk_add_f32 v[70:71], v[56:57], v[62:63] op_sel:[0,1] op_sel_hi:[1,0]
	v_pk_add_f32 v[82:83], v[56:57], v[62:63] op_sel:[0,1] op_sel_hi:[1,0] neg_lo:[0,1] neg_hi:[0,1]
	v_pk_fma_f32 v[56:57], v[66:67], 0.5, v[58:59] op_sel_hi:[1,0,1] neg_lo:[1,0,0] neg_hi:[1,0,0]
	v_pk_mul_f32 v[66:67], v[68:69], s[2:3] op_sel_hi:[1,0]
	v_mov_b32_e32 v68, v70
	v_pk_add_f32 v[62:63], v[56:57], v[66:67] op_sel:[0,1] op_sel_hi:[1,0]
	v_pk_add_f32 v[66:67], v[56:57], v[66:67] op_sel:[0,1] op_sel_hi:[1,0] neg_lo:[0,1] neg_hi:[0,1]
	v_mov_b32_e32 v69, v83
	v_mov_b32_e32 v83, v71
	;; [unrolled: 1-line block ×4, first 2 shown]
	ds_write_b64 v40, v[68:69] offset:3240
	ds_write_b64 v40, v[82:83] offset:6480
	s_and_saveexec_b64 s[2:3], vcc
	s_cbranch_execz .LBB0_21
; %bb.20:
	v_pk_add_f32 v[58:59], v[58:59], v[60:61]
	v_mov_b32_e32 v63, v67
	v_pk_add_f32 v[58:59], v[58:59], v[64:65]
	ds_write_b64 v40, v[58:59] offset:1944
	ds_write_b64 v40, v[62:63] offset:5184
	;; [unrolled: 1-line block ×3, first 2 shown]
.LBB0_21:
	s_or_b64 exec, exec, s[2:3]
	v_lshlrev_b32_e32 v58, 3, v42
	v_mov_b32_e32 v59, 0
	v_lshl_add_u64 v[58:59], s[8:9], 0, v[58:59]
	s_movk_i32 s2, 0x2000
	v_add_co_u32_e64 v60, s[2:3], s2, v58
	s_mov_b64 s[8:9], 0x25f8
	s_nop 0
	v_addc_co_u32_e64 v61, s[2:3], 0, v59, s[2:3]
	s_waitcnt lgkmcnt(0)
	s_barrier
	global_load_dwordx2 v[64:65], v[60:61], off offset:1528
	v_lshl_add_u64 v[60:61], v[58:59], 0, s[8:9]
	global_load_dwordx2 v[66:67], v[60:61], off offset:1944
	s_movk_i32 s2, 0x3000
	v_add_co_u32_e64 v62, s[2:3], s2, v58
	s_mov_b32 s8, 0x3f167918
	s_nop 0
	v_addc_co_u32_e64 v63, s[2:3], 0, v59, s[2:3]
	s_movk_i32 s2, 0x4000
	s_nop 0
	v_add_co_u32_e64 v58, s[2:3], s2, v58
	global_load_dwordx2 v[68:69], v[62:63], off offset:3264
	global_load_dwordx2 v[70:71], v[60:61], off offset:3888
	v_addc_co_u32_e64 v59, s[2:3], 0, v59, s[2:3]
	global_load_dwordx2 v[82:83], v[58:59], off offset:1112
	ds_read2_b64 v[60:63], v40 offset1:243
	v_mov_b32_e32 v58, v4
	v_mov_b32_e32 v59, v4
	v_add_u32_e32 v4, 0xf00, v40
	s_mov_b32 s2, 0x3f737871
	s_mov_b32 s10, 0x3e9e377a
	s_waitcnt vmcnt(4) lgkmcnt(0)
	v_mul_f32_e32 v43, v61, v65
	v_mul_f32_e32 v85, v60, v65
	s_waitcnt vmcnt(3)
	v_mul_f32_e32 v81, v63, v67
	v_mul_f32_e32 v65, v62, v67
	v_fma_f32 v84, v60, v64, -v43
	v_fmac_f32_e32 v85, v61, v64
	v_fma_f32 v64, v62, v66, -v81
	v_fmac_f32_e32 v65, v63, v66
	ds_write2_b64 v40, v[84:85], v[64:65] offset1:243
	ds_read2_b64 v[60:63], v4 offset0:6 offset1:249
	ds_read_b64 v[64:65], v40 offset:7776
	s_waitcnt vmcnt(1) lgkmcnt(1)
	v_mul_f32_e32 v43, v61, v71
	v_mul_f32_e32 v67, v60, v71
	;; [unrolled: 1-line block ×4, first 2 shown]
	s_waitcnt vmcnt(0) lgkmcnt(0)
	v_mul_f32_e32 v84, v65, v83
	v_mul_f32_e32 v69, v64, v83
	v_fma_f32 v66, v60, v70, -v43
	v_fmac_f32_e32 v67, v61, v70
	v_fma_f32 v70, v62, v68, -v81
	v_fmac_f32_e32 v71, v63, v68
	;; [unrolled: 2-line block ×3, first 2 shown]
	ds_write2_b64 v4, v[66:67], v[70:71] offset0:6 offset1:249
	ds_write_b64 v40, v[68:69] offset:7776
	s_waitcnt lgkmcnt(0)
	s_barrier
	ds_read2_b64 v[60:63], v40 offset1:243
	ds_read_b64 v[68:69], v40 offset:7776
	ds_read2_b64 v[64:67], v4 offset0:6 offset1:249
	s_waitcnt lgkmcnt(0)
	s_barrier
	v_pk_add_f32 v[70:71], v[62:63], v[68:69] neg_lo:[0,1] neg_hi:[0,1]
	v_pk_add_f32 v[84:85], v[62:63], v[68:69]
	v_pk_add_f32 v[90:91], v[64:65], v[66:67]
	v_pk_add_f32 v[82:83], v[64:65], v[66:67] neg_lo:[0,1] neg_hi:[0,1]
	v_pk_add_f32 v[86:87], v[64:65], v[62:63] neg_lo:[0,1] neg_hi:[0,1]
	;; [unrolled: 1-line block ×3, first 2 shown]
	v_pk_add_f32 v[62:63], v[60:61], v[62:63]
	v_pk_fma_f32 v[84:85], v[84:85], 0.5, v[60:61] op_sel_hi:[1,0,1] neg_lo:[1,0,0] neg_hi:[1,0,0]
	v_pk_mul_f32 v[98:99], v[70:71], s[8:9] op_sel_hi:[1,0]
	v_pk_fma_f32 v[60:61], v[90:91], 0.5, v[60:61] op_sel_hi:[1,0,1] neg_lo:[1,0,0] neg_hi:[1,0,0]
	v_pk_mul_f32 v[70:71], v[70:71], s[2:3] op_sel_hi:[1,0]
	v_pk_mul_f32 v[96:97], v[82:83], s[2:3] op_sel_hi:[1,0]
	;; [unrolled: 1-line block ×3, first 2 shown]
	v_pk_add_f32 v[62:63], v[62:63], v[64:65]
	v_pk_add_f32 v[64:65], v[60:61], v[70:71] op_sel:[0,1] op_sel_hi:[1,0]
	v_pk_add_f32 v[60:61], v[60:61], v[70:71] op_sel:[0,1] op_sel_hi:[1,0] neg_lo:[0,1] neg_hi:[0,1]
	v_pk_add_f32 v[88:89], v[66:67], v[68:69] neg_lo:[0,1] neg_hi:[0,1]
	v_pk_add_f32 v[94:95], v[68:69], v[66:67] neg_lo:[0,1] neg_hi:[0,1]
	v_pk_add_f32 v[70:71], v[84:85], v[96:97] op_sel:[0,1] op_sel_hi:[1,0]
	v_pk_add_f32 v[84:85], v[84:85], v[96:97] op_sel:[0,1] op_sel_hi:[1,0] neg_lo:[0,1] neg_hi:[0,1]
	v_pk_add_f32 v[62:63], v[62:63], v[66:67]
	v_pk_add_f32 v[66:67], v[60:61], v[82:83] op_sel:[0,1] op_sel_hi:[1,0] neg_lo:[0,1] neg_hi:[0,1]
	v_pk_add_f32 v[82:83], v[64:65], v[82:83] op_sel:[0,1] op_sel_hi:[1,0]
	v_pk_add_f32 v[86:87], v[86:87], v[88:89]
	v_pk_add_f32 v[88:89], v[92:93], v[94:95]
	v_pk_add_f32 v[70:71], v[70:71], v[98:99] op_sel:[0,1] op_sel_hi:[1,0] neg_lo:[0,1] neg_hi:[0,1]
	v_pk_add_f32 v[84:85], v[84:85], v[98:99] op_sel:[0,1] op_sel_hi:[1,0]
	v_mov_b32_e32 v61, v67
	v_mov_b32_e32 v67, v83
	v_pk_add_f32 v[62:63], v[62:63], v[68:69]
	v_mov_b32_e32 v60, v82
	v_mov_b32_e32 v68, v84
	;; [unrolled: 1-line block ×3, first 2 shown]
	v_pk_fma_f32 v[66:67], v[88:89], s[10:11], v[66:67] op_sel_hi:[1,0,1]
	v_mov_b32_e32 v71, v85
	v_pk_fma_f32 v[64:65], v[88:89], s[10:11], v[60:61] op_sel_hi:[1,0,1]
	v_pk_fma_f32 v[60:61], v[86:87], s[10:11], v[68:69] op_sel_hi:[1,0,1]
	ds_write2_b64 v41, v[62:63], v[66:67] offset1:1
	v_pk_fma_f32 v[62:63], v[86:87], s[10:11], v[70:71] op_sel_hi:[1,0,1]
	ds_write2_b64 v41, v[62:63], v[60:61] offset0:2 offset1:3
	ds_write_b64 v41, v[64:65] offset:32
	s_waitcnt lgkmcnt(0)
	s_barrier
	ds_read_b64 v[62:63], v40
	ds_read_b64 v[70:71], v40 offset:3240
	ds_read_b64 v[66:67], v40 offset:6480
	v_mov_b32_e32 v4, v5
	v_mov_b32_e32 v68, v6
	;; [unrolled: 1-line block ×4, first 2 shown]
	s_and_saveexec_b64 s[2:3], vcc
	s_cbranch_execz .LBB0_23
; %bb.22:
	ds_read_b64 v[60:61], v40 offset:1944
	ds_read_b64 v[64:65], v40 offset:5184
	;; [unrolled: 1-line block ×3, first 2 shown]
.LBB0_23:
	s_or_b64 exec, exec, s[2:3]
	s_waitcnt lgkmcnt(1)
	v_pk_mul_f32 v[82:83], v[4:5], v[70:71]
	v_pk_mul_f32 v[4:5], v[0:1], v[64:65] op_sel:[0,1]
	s_waitcnt lgkmcnt(0)
	v_mov_b32_e32 v84, v57
	v_pk_mul_f32 v[84:85], v[2:3], v[84:85] op_sel_hi:[1,0]
	v_pk_fma_f32 v[86:87], v[0:1], v[64:65], v[4:5] op_sel:[0,0,1] op_sel_hi:[1,0,0] neg_lo:[1,0,0] neg_hi:[1,0,0]
	v_pk_fma_f32 v[4:5], v[0:1], v[64:65], v[4:5] op_sel:[0,0,1] op_sel_hi:[1,0,0]
	v_pk_fma_f32 v[0:1], v[2:3], v[56:57], v[84:85] op_sel:[0,0,1] op_sel_hi:[1,0,0] neg_lo:[1,0,0] neg_hi:[1,0,0]
	v_mov_b32_e32 v5, v87
	v_pk_fma_f32 v[2:3], v[2:3], v[56:57], v[84:85] op_sel:[0,0,1] op_sel_hi:[1,0,0]
	s_mov_b32 s2, 0x3f5db3d7
	v_mov_b32_e32 v3, v1
	v_pk_add_f32 v[0:1], v[60:61], v[4:5]
	v_pk_add_f32 v[56:57], v[4:5], v[2:3]
	;; [unrolled: 1-line block ×3, first 2 shown]
	v_pk_add_f32 v[2:3], v[4:5], v[2:3] neg_lo:[0,1] neg_hi:[0,1]
	v_pk_fma_f32 v[56:57], v[56:57], 0.5, v[60:61] op_sel_hi:[1,0,1] neg_lo:[1,0,0] neg_hi:[1,0,0]
	v_pk_mul_f32 v[2:3], v[2:3], s[2:3] op_sel_hi:[1,0]
	v_pk_mul_f32 v[6:7], v[6:7], v[66:67]
	v_pk_add_f32 v[4:5], v[2:3], v[56:57] op_sel:[1,0] op_sel_hi:[0,1]
	v_pk_add_f32 v[2:3], v[56:57], v[2:3] op_sel:[0,1] op_sel_hi:[1,0] neg_lo:[0,1] neg_hi:[0,1]
	v_pk_fma_f32 v[56:57], v[58:59], v[70:71], v[82:83] op_sel:[0,0,1] op_sel_hi:[1,1,0]
	v_pk_fma_f32 v[58:59], v[58:59], v[70:71], v[82:83] op_sel:[0,0,1] op_sel_hi:[1,1,0] neg_lo:[0,0,1] neg_hi:[0,0,1]
	s_nop 0
	v_mov_b32_e32 v57, v59
	v_pk_fma_f32 v[58:59], v[68:69], v[66:67], v[6:7] op_sel:[0,0,1] op_sel_hi:[1,1,0]
	v_pk_fma_f32 v[6:7], v[68:69], v[66:67], v[6:7] op_sel:[0,0,1] op_sel_hi:[1,1,0] neg_lo:[0,0,1] neg_hi:[0,0,1]
	s_barrier
	v_mov_b32_e32 v59, v7
	v_pk_add_f32 v[6:7], v[62:63], v[56:57]
	v_pk_add_f32 v[60:61], v[56:57], v[58:59]
	v_pk_add_f32 v[56:57], v[56:57], v[58:59] neg_lo:[0,1] neg_hi:[0,1]
	v_pk_fma_f32 v[60:61], v[60:61], 0.5, v[62:63] op_sel_hi:[1,0,1] neg_lo:[1,0,0] neg_hi:[1,0,0]
	v_pk_mul_f32 v[56:57], v[56:57], s[2:3] op_sel_hi:[1,0]
	v_pk_add_f32 v[6:7], v[6:7], v[58:59]
	v_pk_add_f32 v[58:59], v[60:61], v[56:57] op_sel:[0,1] op_sel_hi:[1,0] neg_lo:[0,1] neg_hi:[0,1]
	v_pk_add_f32 v[56:57], v[60:61], v[56:57] op_sel:[0,1] op_sel_hi:[1,0]
	v_mov_b32_e32 v60, v58
	v_mov_b32_e32 v61, v57
	;; [unrolled: 1-line block ×3, first 2 shown]
	ds_write2_b64 v45, v[6:7], v[60:61] offset1:5
	ds_write_b64 v45, v[56:57] offset:80
	s_and_saveexec_b64 s[2:3], vcc
	s_cbranch_execz .LBB0_25
; %bb.24:
	v_lshlrev_b32_e32 v41, 3, v73
	v_mov_b32_e32 v6, v2
	v_mov_b32_e32 v7, v5
	ds_write2_b64 v41, v[0:1], v[6:7] offset1:5
	v_mov_b32_e32 v6, v4
	v_mov_b32_e32 v7, v3
	ds_write_b64 v41, v[6:7] offset:80
.LBB0_25:
	s_or_b64 exec, exec, s[2:3]
	s_waitcnt lgkmcnt(0)
	s_barrier
	ds_read_b64 v[6:7], v40
	ds_read_b64 v[58:59], v40 offset:3240
	ds_read_b64 v[56:57], v40 offset:6480
	s_and_saveexec_b64 s[2:3], s[0:1]
	s_xor_b64 s[2:3], exec, s[2:3]
	s_or_saveexec_b64 s[2:3], s[2:3]
	v_mov_b32_e32 v62, v12
	v_mov_b32_e32 v63, v12
	;; [unrolled: 1-line block ×6, first 2 shown]
	s_xor_b64 exec, exec, s[2:3]
	s_cbranch_execz .LBB0_27
; %bb.26:
	ds_read_b64 v[64:65], v40 offset:8424
	ds_read_b64 v[2:3], v40 offset:5184
	;; [unrolled: 1-line block ×3, first 2 shown]
	s_waitcnt lgkmcnt(2)
	v_mov_b32_e32 v4, v64
	s_waitcnt lgkmcnt(1)
	v_mov_b32_e32 v5, v3
	v_mov_b32_e32 v3, v65
.LBB0_27:
	s_or_b64 exec, exec, s[2:3]
	v_pk_mul_f32 v[64:65], v[8:9], v[2:3] op_sel_hi:[1,0]
	v_pk_mul_f32 v[66:67], v[10:11], v[4:5] op_sel_hi:[1,0]
	v_pk_fma_f32 v[68:69], v[8:9], v[4:5], v[64:65] op_sel:[0,0,1] op_sel_hi:[1,1,0]
	v_pk_fma_f32 v[4:5], v[8:9], v[4:5], v[64:65] op_sel:[0,1,1] op_sel_hi:[1,1,0] neg_lo:[0,0,1] neg_hi:[0,0,1]
	v_pk_fma_f32 v[8:9], v[10:11], v[2:3], v[66:67] op_sel:[0,0,1] op_sel_hi:[1,1,0]
	v_pk_fma_f32 v[2:3], v[10:11], v[2:3], v[66:67] op_sel:[0,1,1] op_sel_hi:[1,1,0] neg_lo:[0,0,1] neg_hi:[0,0,1]
	v_mov_b32_e32 v10, v69
	v_mov_b32_e32 v3, v9
	;; [unrolled: 1-line block ×5, first 2 shown]
	v_pk_add_f32 v[64:65], v[10:11], v[8:9]
	s_waitcnt lgkmcnt(1)
	v_pk_mul_f32 v[12:13], v[12:13], v[58:59]
	s_waitcnt lgkmcnt(0)
	v_pk_fma_f32 v[64:65], v[64:65], 0.5, v[0:1] op_sel_hi:[1,0,1] neg_lo:[1,0,0] neg_hi:[1,0,0]
	v_pk_add_f32 v[0:1], v[0:1], v[10:11]
	v_pk_mul_f32 v[14:15], v[14:15], v[56:57]
	v_pk_add_f32 v[0:1], v[0:1], v[8:9]
	v_pk_fma_f32 v[8:9], v[62:63], v[58:59], v[12:13] op_sel:[0,0,1] op_sel_hi:[1,1,0]
	v_pk_fma_f32 v[10:11], v[62:63], v[58:59], v[12:13] op_sel:[0,0,1] op_sel_hi:[1,1,0] neg_lo:[0,0,1] neg_hi:[0,0,1]
	v_pk_fma_f32 v[12:13], v[60:61], v[56:57], v[14:15] op_sel:[0,0,1] op_sel_hi:[1,1,0] neg_lo:[0,0,1] neg_hi:[0,0,1]
	v_mov_b32_e32 v9, v11
	v_pk_fma_f32 v[10:11], v[60:61], v[56:57], v[14:15] op_sel:[0,0,1] op_sel_hi:[1,1,0]
	s_mov_b32 s2, 0x3f5db3d7
	v_mov_b32_e32 v11, v13
	v_pk_add_f32 v[12:13], v[6:7], v[8:9]
	v_pk_add_f32 v[14:15], v[8:9], v[10:11]
	v_pk_add_f32 v[8:9], v[8:9], v[10:11] neg_lo:[0,1] neg_hi:[0,1]
	v_mov_b32_e32 v5, v69
	v_pk_fma_f32 v[6:7], v[14:15], 0.5, v[6:7] op_sel_hi:[1,0,1] neg_lo:[1,0,0] neg_hi:[1,0,0]
	v_pk_mul_f32 v[8:9], v[8:9], s[2:3] op_sel_hi:[1,0]
	v_pk_add_f32 v[4:5], v[4:5], v[2:3] neg_lo:[0,1] neg_hi:[0,1]
	v_pk_add_f32 v[12:13], v[12:13], v[10:11]
	v_pk_add_f32 v[10:11], v[6:7], v[8:9] op_sel:[0,1] op_sel_hi:[1,0] neg_lo:[0,1] neg_hi:[0,1]
	v_pk_add_f32 v[6:7], v[6:7], v[8:9] op_sel:[0,1] op_sel_hi:[1,0]
	v_pk_fma_f32 v[2:3], v[4:5], s[2:3], v[64:65] op_sel_hi:[1,0,1]
	v_pk_fma_f32 v[4:5], v[4:5], s[2:3], v[64:65] op_sel_hi:[1,0,1] neg_lo:[1,0,0] neg_hi:[1,0,0]
	v_mov_b32_e32 v8, v10
	v_mov_b32_e32 v9, v7
	;; [unrolled: 1-line block ×3, first 2 shown]
	s_barrier
	ds_write2_b64 v72, v[12:13], v[8:9] offset1:15
	ds_write_b64 v72, v[6:7] offset:240
	s_and_saveexec_b64 s[2:3], vcc
	s_cbranch_execz .LBB0_29
; %bb.28:
	v_lshlrev_b32_e32 v8, 3, v76
	v_mov_b32_e32 v6, v4
	v_mov_b32_e32 v7, v3
	ds_write2_b64 v8, v[0:1], v[6:7] offset1:15
	v_mov_b32_e32 v6, v2
	v_mov_b32_e32 v7, v5
	ds_write_b64 v8, v[6:7] offset:240
.LBB0_29:
	s_or_b64 exec, exec, s[2:3]
	s_waitcnt lgkmcnt(0)
	s_barrier
	ds_read_b64 v[6:7], v40
	ds_read_b64 v[10:11], v40 offset:3240
	ds_read_b64 v[8:9], v40 offset:6480
	s_and_saveexec_b64 s[2:3], s[0:1]
	s_xor_b64 s[2:3], exec, s[2:3]
	s_or_saveexec_b64 s[2:3], s[2:3]
	v_mov_b32_e32 v14, v20
	v_mov_b32_e32 v15, v20
	;; [unrolled: 1-line block ×6, first 2 shown]
	s_xor_b64 exec, exec, s[2:3]
	s_cbranch_execz .LBB0_31
; %bb.30:
	ds_read_b64 v[56:57], v40 offset:8424
	ds_read_b64 v[4:5], v40 offset:5184
	;; [unrolled: 1-line block ×3, first 2 shown]
	s_waitcnt lgkmcnt(2)
	v_mov_b32_e32 v2, v56
	s_waitcnt lgkmcnt(1)
	v_mov_b32_e32 v3, v5
	v_mov_b32_e32 v5, v57
.LBB0_31:
	s_or_b64 exec, exec, s[2:3]
	v_pk_mul_f32 v[56:57], v[16:17], v[2:3] op_sel:[0,1]
	v_pk_mul_f32 v[58:59], v[18:19], v[4:5] op_sel:[0,1]
	v_pk_fma_f32 v[60:61], v[16:17], v[4:5], v[56:57] op_sel:[0,0,1] op_sel_hi:[1,1,0]
	v_pk_fma_f32 v[4:5], v[16:17], v[4:5], v[56:57] op_sel:[0,0,1] op_sel_hi:[1,0,0] neg_lo:[1,0,0] neg_hi:[1,0,0]
	s_mov_b32 s2, 0x3f5db3d7
	v_mov_b32_e32 v61, v5
	v_pk_fma_f32 v[4:5], v[18:19], v[2:3], v[58:59] op_sel:[0,0,1] op_sel_hi:[1,1,0]
	v_pk_fma_f32 v[2:3], v[18:19], v[2:3], v[58:59] op_sel:[0,0,1] op_sel_hi:[1,0,0] neg_lo:[1,0,0] neg_hi:[1,0,0]
	s_waitcnt lgkmcnt(1)
	v_pk_mul_f32 v[20:21], v[20:21], v[10:11]
	v_mov_b32_e32 v5, v3
	v_pk_add_f32 v[16:17], v[60:61], v[4:5]
	s_waitcnt lgkmcnt(0)
	v_pk_add_f32 v[2:3], v[0:1], v[60:61]
	v_pk_fma_f32 v[16:17], v[16:17], 0.5, v[0:1] op_sel_hi:[1,0,1] neg_lo:[1,0,0] neg_hi:[1,0,0]
	v_pk_add_f32 v[0:1], v[60:61], v[4:5] neg_lo:[0,1] neg_hi:[0,1]
	v_pk_add_f32 v[2:3], v[2:3], v[4:5]
	v_pk_mul_f32 v[4:5], v[0:1], s[2:3] op_sel_hi:[1,0]
	v_pk_mul_f32 v[22:23], v[22:23], v[8:9]
	v_pk_add_f32 v[0:1], v[4:5], v[16:17] op_sel:[1,0] op_sel_hi:[0,1]
	v_pk_add_f32 v[4:5], v[16:17], v[4:5] op_sel:[0,1] op_sel_hi:[1,0] neg_lo:[0,1] neg_hi:[0,1]
	v_pk_fma_f32 v[16:17], v[14:15], v[10:11], v[20:21] op_sel:[0,0,1] op_sel_hi:[1,1,0]
	v_pk_fma_f32 v[10:11], v[14:15], v[10:11], v[20:21] op_sel:[0,0,1] op_sel_hi:[1,1,0] neg_lo:[0,0,1] neg_hi:[0,0,1]
	s_nop 0
	v_mov_b32_e32 v17, v11
	v_pk_fma_f32 v[10:11], v[12:13], v[8:9], v[22:23] op_sel:[0,0,1] op_sel_hi:[1,1,0]
	v_pk_fma_f32 v[8:9], v[12:13], v[8:9], v[22:23] op_sel:[0,0,1] op_sel_hi:[1,1,0] neg_lo:[0,0,1] neg_hi:[0,0,1]
	s_barrier
	v_mov_b32_e32 v11, v9
	v_pk_add_f32 v[8:9], v[6:7], v[16:17]
	v_pk_add_f32 v[12:13], v[16:17], v[10:11]
	;; [unrolled: 1-line block ×3, first 2 shown]
	v_pk_add_f32 v[10:11], v[16:17], v[10:11] neg_lo:[0,1] neg_hi:[0,1]
	v_pk_fma_f32 v[6:7], v[12:13], 0.5, v[6:7] op_sel_hi:[1,0,1] neg_lo:[1,0,0] neg_hi:[1,0,0]
	v_pk_mul_f32 v[10:11], v[10:11], s[2:3] op_sel_hi:[1,0]
	s_nop 0
	v_pk_add_f32 v[12:13], v[6:7], v[10:11] op_sel:[0,1] op_sel_hi:[1,0] neg_lo:[0,1] neg_hi:[0,1]
	v_pk_add_f32 v[6:7], v[6:7], v[10:11] op_sel:[0,1] op_sel_hi:[1,0]
	v_mov_b32_e32 v10, v12
	v_mov_b32_e32 v11, v7
	;; [unrolled: 1-line block ×3, first 2 shown]
	ds_write2_b64 v78, v[8:9], v[10:11] offset1:45
	ds_write_b64 v78, v[6:7] offset:720
	s_and_saveexec_b64 s[2:3], vcc
	s_cbranch_execz .LBB0_33
; %bb.32:
	s_movk_i32 s8, 0x87
	v_mad_legacy_u16 v6, v74, s8, v75
	v_lshlrev_b32_e32 v8, 3, v6
	v_mov_b32_e32 v6, v4
	v_mov_b32_e32 v7, v1
	ds_write2_b64 v8, v[2:3], v[6:7] offset1:45
	v_mov_b32_e32 v6, v0
	v_mov_b32_e32 v7, v5
	ds_write_b64 v8, v[6:7] offset:720
.LBB0_33:
	s_or_b64 exec, exec, s[2:3]
	s_waitcnt lgkmcnt(0)
	s_barrier
	ds_read_b64 v[6:7], v40
	ds_read_b64 v[10:11], v40 offset:3240
	ds_read_b64 v[8:9], v40 offset:6480
	s_and_saveexec_b64 s[2:3], s[0:1]
	s_xor_b64 s[2:3], exec, s[2:3]
	s_or_saveexec_b64 s[2:3], s[2:3]
	v_mov_b32_e32 v14, v24
	v_mov_b32_e32 v15, v24
	;; [unrolled: 1-line block ×6, first 2 shown]
	s_xor_b64 exec, exec, s[2:3]
	s_cbranch_execz .LBB0_35
; %bb.34:
	ds_read_b64 v[16:17], v40 offset:8424
	ds_read_b64 v[4:5], v40 offset:5184
	;; [unrolled: 1-line block ×3, first 2 shown]
	s_waitcnt lgkmcnt(2)
	v_mov_b32_e32 v0, v16
	s_waitcnt lgkmcnt(1)
	v_mov_b32_e32 v1, v5
	v_mov_b32_e32 v5, v17
.LBB0_35:
	s_or_b64 exec, exec, s[2:3]
	v_pk_mul_f32 v[20:21], v[28:29], v[0:1] op_sel:[0,1]
	s_waitcnt lgkmcnt(1)
	v_pk_mul_f32 v[16:17], v[24:25], v[10:11]
	v_pk_mul_f32 v[22:23], v[30:31], v[4:5] op_sel:[0,1]
	v_pk_fma_f32 v[24:25], v[28:29], v[4:5], v[20:21] op_sel:[0,0,1] op_sel_hi:[1,1,0]
	v_pk_fma_f32 v[4:5], v[28:29], v[4:5], v[20:21] op_sel:[0,0,1] op_sel_hi:[1,0,0] neg_lo:[1,0,0] neg_hi:[1,0,0]
	s_mov_b32 s2, 0x3f5db3d7
	v_mov_b32_e32 v25, v5
	v_pk_fma_f32 v[4:5], v[30:31], v[0:1], v[22:23] op_sel:[0,0,1] op_sel_hi:[1,1,0]
	v_pk_fma_f32 v[0:1], v[30:31], v[0:1], v[22:23] op_sel:[0,0,1] op_sel_hi:[1,0,0] neg_lo:[1,0,0] neg_hi:[1,0,0]
	s_waitcnt lgkmcnt(0)
	v_pk_mul_f32 v[18:19], v[26:27], v[8:9]
	v_mov_b32_e32 v5, v1
	v_pk_add_f32 v[20:21], v[24:25], v[4:5]
	v_pk_add_f32 v[0:1], v[2:3], v[24:25]
	v_pk_fma_f32 v[20:21], v[20:21], 0.5, v[2:3] op_sel_hi:[1,0,1] neg_lo:[1,0,0] neg_hi:[1,0,0]
	v_pk_add_f32 v[2:3], v[24:25], v[4:5] neg_lo:[0,1] neg_hi:[0,1]
	v_pk_add_f32 v[0:1], v[0:1], v[4:5]
	v_pk_mul_f32 v[4:5], v[2:3], s[2:3] op_sel_hi:[1,0]
	s_nop 0
	v_pk_add_f32 v[2:3], v[4:5], v[20:21] op_sel:[1,0] op_sel_hi:[0,1]
	v_pk_add_f32 v[4:5], v[20:21], v[4:5] op_sel:[0,1] op_sel_hi:[1,0] neg_lo:[0,1] neg_hi:[0,1]
	v_pk_fma_f32 v[20:21], v[14:15], v[10:11], v[16:17] op_sel:[0,0,1] op_sel_hi:[1,1,0]
	v_pk_fma_f32 v[10:11], v[14:15], v[10:11], v[16:17] op_sel:[0,0,1] op_sel_hi:[1,1,0] neg_lo:[0,0,1] neg_hi:[0,0,1]
	s_barrier
	v_mov_b32_e32 v21, v11
	v_pk_fma_f32 v[10:11], v[12:13], v[8:9], v[18:19] op_sel:[0,0,1] op_sel_hi:[1,1,0]
	v_pk_fma_f32 v[8:9], v[12:13], v[8:9], v[18:19] op_sel:[0,0,1] op_sel_hi:[1,1,0] neg_lo:[0,0,1] neg_hi:[0,0,1]
	s_nop 0
	v_mov_b32_e32 v11, v9
	v_pk_add_f32 v[8:9], v[6:7], v[20:21]
	v_pk_add_f32 v[12:13], v[20:21], v[10:11]
	;; [unrolled: 1-line block ×3, first 2 shown]
	v_pk_add_f32 v[10:11], v[20:21], v[10:11] neg_lo:[0,1] neg_hi:[0,1]
	v_pk_fma_f32 v[6:7], v[12:13], 0.5, v[6:7] op_sel_hi:[1,0,1] neg_lo:[1,0,0] neg_hi:[1,0,0]
	v_pk_mul_f32 v[10:11], v[10:11], s[2:3] op_sel_hi:[1,0]
	s_nop 0
	v_pk_add_f32 v[12:13], v[6:7], v[10:11] op_sel:[0,1] op_sel_hi:[1,0] neg_lo:[0,1] neg_hi:[0,1]
	v_pk_add_f32 v[6:7], v[6:7], v[10:11] op_sel:[0,1] op_sel_hi:[1,0]
	v_mov_b32_e32 v10, v12
	v_mov_b32_e32 v11, v7
	;; [unrolled: 1-line block ×3, first 2 shown]
	ds_write2_b64 v80, v[8:9], v[10:11] offset1:135
	ds_write_b64 v80, v[6:7] offset:2160
	s_and_saveexec_b64 s[2:3], vcc
	s_cbranch_execz .LBB0_37
; %bb.36:
	s_movk_i32 s8, 0x195
	v_mad_legacy_u16 v6, v77, s8, v79
	v_lshlrev_b32_e32 v8, 3, v6
	v_mov_b32_e32 v6, v4
	v_mov_b32_e32 v7, v3
	ds_write2_b64 v8, v[0:1], v[6:7] offset1:135
	v_mov_b32_e32 v6, v2
	v_mov_b32_e32 v7, v5
	ds_write_b64 v8, v[6:7] offset:2160
.LBB0_37:
	s_or_b64 exec, exec, s[2:3]
	s_waitcnt lgkmcnt(0)
	s_barrier
	ds_read_b64 v[6:7], v40
	ds_read_b64 v[10:11], v40 offset:3240
	ds_read_b64 v[8:9], v40 offset:6480
	s_and_saveexec_b64 s[2:3], s[0:1]
	s_xor_b64 s[0:1], exec, s[2:3]
	s_or_saveexec_b64 s[0:1], s[0:1]
	v_mov_b32_e32 v14, v36
	v_mov_b32_e32 v15, v36
	;; [unrolled: 1-line block ×6, first 2 shown]
	s_xor_b64 exec, exec, s[0:1]
	s_cbranch_execz .LBB0_39
; %bb.38:
	ds_read_b64 v[16:17], v40 offset:8424
	ds_read_b64 v[4:5], v40 offset:5184
	ds_read_b64 v[0:1], v40 offset:1944
	s_waitcnt lgkmcnt(2)
	v_mov_b32_e32 v2, v16
	s_waitcnt lgkmcnt(1)
	v_mov_b32_e32 v3, v5
	v_mov_b32_e32 v5, v17
.LBB0_39:
	s_or_b64 exec, exec, s[0:1]
	s_waitcnt lgkmcnt(1)
	v_pk_mul_f32 v[16:17], v[36:37], v[10:11]
	s_waitcnt lgkmcnt(0)
	v_pk_mul_f32 v[18:19], v[38:39], v[8:9]
	v_pk_fma_f32 v[20:21], v[14:15], v[10:11], v[16:17] op_sel:[0,0,1] op_sel_hi:[1,1,0]
	v_pk_fma_f32 v[10:11], v[14:15], v[10:11], v[16:17] op_sel:[0,0,1] op_sel_hi:[1,1,0] neg_lo:[0,0,1] neg_hi:[0,0,1]
	s_mov_b32 s0, 0x3f5db3d7
	v_mov_b32_e32 v21, v11
	v_pk_fma_f32 v[10:11], v[12:13], v[8:9], v[18:19] op_sel:[0,0,1] op_sel_hi:[1,1,0]
	v_pk_fma_f32 v[8:9], v[12:13], v[8:9], v[18:19] op_sel:[0,0,1] op_sel_hi:[1,1,0] neg_lo:[0,0,1] neg_hi:[0,0,1]
	s_nop 0
	v_mov_b32_e32 v11, v9
	v_pk_add_f32 v[8:9], v[6:7], v[20:21]
	s_nop 0
	v_pk_add_f32 v[8:9], v[8:9], v[10:11]
	ds_write_b64 v40, v[8:9]
	v_pk_add_f32 v[8:9], v[20:21], v[10:11]
	s_nop 0
	v_pk_fma_f32 v[6:7], -0.5, v[8:9], v[6:7] op_sel_hi:[0,1,1]
	v_pk_add_f32 v[8:9], v[20:21], v[10:11] neg_lo:[0,1] neg_hi:[0,1]
	s_nop 0
	v_pk_mul_f32 v[8:9], v[8:9], s[0:1] op_sel_hi:[1,0]
	s_nop 0
	v_pk_add_f32 v[10:11], v[6:7], v[8:9] op_sel:[0,1] op_sel_hi:[1,0] neg_lo:[0,1] neg_hi:[0,1]
	v_pk_add_f32 v[6:7], v[6:7], v[8:9] op_sel:[0,1] op_sel_hi:[1,0]
	v_mov_b32_e32 v8, v10
	v_mov_b32_e32 v9, v7
	;; [unrolled: 1-line block ×3, first 2 shown]
	ds_write_b64 v40, v[8:9] offset:3240
	ds_write_b64 v40, v[6:7] offset:6480
	s_and_saveexec_b64 s[2:3], vcc
	s_cbranch_execz .LBB0_41
; %bb.40:
	v_pk_mul_f32 v[6:7], v[32:33], v[2:3] op_sel:[0,1]
	v_pk_mul_f32 v[8:9], v[34:35], v[4:5] op_sel:[0,1]
	v_pk_fma_f32 v[10:11], v[32:33], v[4:5], v[6:7] op_sel:[0,0,1] op_sel_hi:[1,1,0]
	v_pk_fma_f32 v[4:5], v[32:33], v[4:5], v[6:7] op_sel:[0,0,1] op_sel_hi:[1,0,0] neg_lo:[1,0,0] neg_hi:[1,0,0]
	s_nop 0
	v_mov_b32_e32 v11, v5
	v_pk_fma_f32 v[4:5], v[34:35], v[2:3], v[8:9] op_sel:[0,0,1] op_sel_hi:[1,1,0]
	v_pk_fma_f32 v[2:3], v[34:35], v[2:3], v[8:9] op_sel:[0,0,1] op_sel_hi:[1,0,0] neg_lo:[1,0,0] neg_hi:[1,0,0]
	s_nop 0
	v_mov_b32_e32 v5, v3
	v_pk_add_f32 v[2:3], v[0:1], v[10:11]
	s_nop 0
	v_pk_add_f32 v[2:3], v[2:3], v[4:5]
	ds_write_b64 v40, v[2:3] offset:1944
	v_pk_add_f32 v[2:3], v[10:11], v[4:5]
	s_nop 0
	v_pk_fma_f32 v[0:1], -0.5, v[2:3], v[0:1] op_sel_hi:[0,1,1]
	v_pk_add_f32 v[2:3], v[10:11], v[4:5] neg_lo:[0,1] neg_hi:[0,1]
	s_nop 0
	v_pk_mul_f32 v[2:3], v[2:3], s[0:1] op_sel_hi:[1,0]
	s_nop 0
	v_pk_add_f32 v[4:5], v[0:1], v[2:3] op_sel:[0,1] op_sel_hi:[1,0] neg_lo:[0,1] neg_hi:[0,1]
	v_pk_add_f32 v[0:1], v[0:1], v[2:3] op_sel:[0,1] op_sel_hi:[1,0]
	v_mov_b32_e32 v2, v4
	v_mov_b32_e32 v3, v1
	;; [unrolled: 1-line block ×3, first 2 shown]
	ds_write_b64 v40, v[2:3] offset:5184
	ds_write_b64 v40, v[0:1] offset:8424
.LBB0_41:
	s_or_b64 exec, exec, s[2:3]
	s_waitcnt lgkmcnt(0)
	s_barrier
	ds_read2_b64 v[0:3], v40 offset1:243
	v_mad_u64_u32 v[6:7], s[0:1], s6, v44, 0
	v_mov_b32_e32 v8, v7
	v_mad_u64_u32 v[8:9], s[0:1], s7, v44, v[8:9]
	v_mov_b32_e32 v7, v8
	s_waitcnt lgkmcnt(0)
	v_mul_f32_e32 v8, v55, v1
	v_fmac_f32_e32 v8, v54, v0
	v_mul_f32_e32 v0, v55, v0
	s_mov_b32 s0, 0x40e53dbc
	v_fma_f32 v0, v54, v1, -v0
	v_cvt_f64_f32_e32 v[8:9], v8
	s_mov_b32 s1, 0x3f4af834
	v_cvt_f64_f32_e32 v[0:1], v0
	v_mul_f64 v[8:9], v[8:9], s[0:1]
	v_mul_f64 v[0:1], v[0:1], s[0:1]
	v_cvt_f32_f64_e32 v8, v[8:9]
	v_cvt_f32_f64_e32 v9, v[0:1]
	v_mad_u64_u32 v[0:1], s[2:3], s4, v42, 0
	v_mov_b32_e32 v10, v1
	v_mov_b32_e32 v4, s12
	;; [unrolled: 1-line block ×3, first 2 shown]
	v_mad_u64_u32 v[10:11], s[2:3], s5, v42, v[10:11]
	v_mov_b32_e32 v1, v10
	v_lshl_add_u64 v[4:5], v[6:7], 3, v[4:5]
	v_lshl_add_u64 v[4:5], v[0:1], 3, v[4:5]
	v_mul_f32_e32 v0, v53, v3
	v_fmac_f32_e32 v0, v52, v2
	v_cvt_f64_f32_e32 v[0:1], v0
	v_mul_f64 v[0:1], v[0:1], s[0:1]
	v_cvt_f32_f64_e32 v6, v[0:1]
	v_mul_f32_e32 v0, v53, v2
	v_fma_f32 v0, v52, v3, -v0
	v_cvt_f64_f32_e32 v[0:1], v0
	v_mul_f64 v[0:1], v[0:1], s[0:1]
	v_cvt_f32_f64_e32 v7, v[0:1]
	v_add_u32_e32 v0, 0xf00, v40
	ds_read2_b64 v[0:3], v0 offset0:6 offset1:249
	global_store_dwordx2 v[4:5], v[8:9], off
	v_mov_b32_e32 v8, 0x798
	v_mad_u64_u32 v[4:5], s[2:3], s4, v8, v[4:5]
	s_mulk_i32 s5, 0x798
	v_add_u32_e32 v5, s5, v5
	global_store_dwordx2 v[4:5], v[6:7], off
	s_waitcnt lgkmcnt(0)
	v_mul_f32_e32 v6, v49, v1
	v_fmac_f32_e32 v6, v48, v0
	v_mul_f32_e32 v0, v49, v0
	v_fma_f32 v0, v48, v1, -v0
	v_cvt_f64_f32_e32 v[6:7], v6
	v_cvt_f64_f32_e32 v[0:1], v0
	v_mul_f64 v[6:7], v[6:7], s[0:1]
	v_mul_f64 v[0:1], v[0:1], s[0:1]
	v_cvt_f32_f64_e32 v6, v[6:7]
	v_cvt_f32_f64_e32 v7, v[0:1]
	v_mad_u64_u32 v[0:1], s[2:3], s4, v8, v[4:5]
	v_mul_f32_e32 v4, v51, v3
	v_fmac_f32_e32 v4, v50, v2
	v_mul_f32_e32 v2, v51, v2
	v_fma_f32 v2, v50, v3, -v2
	v_cvt_f64_f32_e32 v[4:5], v4
	v_cvt_f64_f32_e32 v[2:3], v2
	v_mul_f64 v[4:5], v[4:5], s[0:1]
	v_mul_f64 v[2:3], v[2:3], s[0:1]
	v_cvt_f32_f64_e32 v4, v[4:5]
	v_cvt_f32_f64_e32 v5, v[2:3]
	ds_read_b64 v[2:3], v40 offset:7776
	v_add_u32_e32 v1, s5, v1
	global_store_dwordx2 v[0:1], v[6:7], off
	v_mad_u64_u32 v[0:1], s[2:3], s4, v8, v[0:1]
	v_add_u32_e32 v1, s5, v1
	global_store_dwordx2 v[0:1], v[4:5], off
	s_waitcnt lgkmcnt(0)
	v_mul_f32_e32 v4, v47, v3
	v_fmac_f32_e32 v4, v46, v2
	v_mul_f32_e32 v2, v47, v2
	v_fma_f32 v2, v46, v3, -v2
	v_cvt_f64_f32_e32 v[4:5], v4
	v_cvt_f64_f32_e32 v[2:3], v2
	v_mul_f64 v[4:5], v[4:5], s[0:1]
	v_mul_f64 v[2:3], v[2:3], s[0:1]
	v_mad_u64_u32 v[0:1], s[0:1], s4, v8, v[0:1]
	v_cvt_f32_f64_e32 v4, v[4:5]
	v_cvt_f32_f64_e32 v5, v[2:3]
	v_add_u32_e32 v1, s5, v1
	global_store_dwordx2 v[0:1], v[4:5], off
.LBB0_42:
	s_endpgm
	.section	.rodata,"a",@progbits
	.p2align	6, 0x0
	.amdhsa_kernel bluestein_single_back_len1215_dim1_sp_op_CI_CI
		.amdhsa_group_segment_fixed_size 9720
		.amdhsa_private_segment_fixed_size 0
		.amdhsa_kernarg_size 104
		.amdhsa_user_sgpr_count 2
		.amdhsa_user_sgpr_dispatch_ptr 0
		.amdhsa_user_sgpr_queue_ptr 0
		.amdhsa_user_sgpr_kernarg_segment_ptr 1
		.amdhsa_user_sgpr_dispatch_id 0
		.amdhsa_user_sgpr_kernarg_preload_length 0
		.amdhsa_user_sgpr_kernarg_preload_offset 0
		.amdhsa_user_sgpr_private_segment_size 0
		.amdhsa_uses_dynamic_stack 0
		.amdhsa_enable_private_segment 0
		.amdhsa_system_sgpr_workgroup_id_x 1
		.amdhsa_system_sgpr_workgroup_id_y 0
		.amdhsa_system_sgpr_workgroup_id_z 0
		.amdhsa_system_sgpr_workgroup_info 0
		.amdhsa_system_vgpr_workitem_id 0
		.amdhsa_next_free_vgpr 100
		.amdhsa_next_free_sgpr 18
		.amdhsa_accum_offset 100
		.amdhsa_reserve_vcc 1
		.amdhsa_float_round_mode_32 0
		.amdhsa_float_round_mode_16_64 0
		.amdhsa_float_denorm_mode_32 3
		.amdhsa_float_denorm_mode_16_64 3
		.amdhsa_dx10_clamp 1
		.amdhsa_ieee_mode 1
		.amdhsa_fp16_overflow 0
		.amdhsa_tg_split 0
		.amdhsa_exception_fp_ieee_invalid_op 0
		.amdhsa_exception_fp_denorm_src 0
		.amdhsa_exception_fp_ieee_div_zero 0
		.amdhsa_exception_fp_ieee_overflow 0
		.amdhsa_exception_fp_ieee_underflow 0
		.amdhsa_exception_fp_ieee_inexact 0
		.amdhsa_exception_int_div_zero 0
	.end_amdhsa_kernel
	.text
.Lfunc_end0:
	.size	bluestein_single_back_len1215_dim1_sp_op_CI_CI, .Lfunc_end0-bluestein_single_back_len1215_dim1_sp_op_CI_CI
                                        ; -- End function
	.section	.AMDGPU.csdata,"",@progbits
; Kernel info:
; codeLenInByte = 7280
; NumSgprs: 24
; NumVgprs: 100
; NumAgprs: 0
; TotalNumVgprs: 100
; ScratchSize: 0
; MemoryBound: 0
; FloatMode: 240
; IeeeMode: 1
; LDSByteSize: 9720 bytes/workgroup (compile time only)
; SGPRBlocks: 2
; VGPRBlocks: 12
; NumSGPRsForWavesPerEU: 24
; NumVGPRsForWavesPerEU: 100
; AccumOffset: 100
; Occupancy: 4
; WaveLimiterHint : 1
; COMPUTE_PGM_RSRC2:SCRATCH_EN: 0
; COMPUTE_PGM_RSRC2:USER_SGPR: 2
; COMPUTE_PGM_RSRC2:TRAP_HANDLER: 0
; COMPUTE_PGM_RSRC2:TGID_X_EN: 1
; COMPUTE_PGM_RSRC2:TGID_Y_EN: 0
; COMPUTE_PGM_RSRC2:TGID_Z_EN: 0
; COMPUTE_PGM_RSRC2:TIDIG_COMP_CNT: 0
; COMPUTE_PGM_RSRC3_GFX90A:ACCUM_OFFSET: 24
; COMPUTE_PGM_RSRC3_GFX90A:TG_SPLIT: 0
	.text
	.p2alignl 6, 3212836864
	.fill 256, 4, 3212836864
	.type	__hip_cuid_81ca36367458d333,@object ; @__hip_cuid_81ca36367458d333
	.section	.bss,"aw",@nobits
	.globl	__hip_cuid_81ca36367458d333
__hip_cuid_81ca36367458d333:
	.byte	0                               ; 0x0
	.size	__hip_cuid_81ca36367458d333, 1

	.ident	"AMD clang version 19.0.0git (https://github.com/RadeonOpenCompute/llvm-project roc-6.4.0 25133 c7fe45cf4b819c5991fe208aaa96edf142730f1d)"
	.section	".note.GNU-stack","",@progbits
	.addrsig
	.addrsig_sym __hip_cuid_81ca36367458d333
	.amdgpu_metadata
---
amdhsa.kernels:
  - .agpr_count:     0
    .args:
      - .actual_access:  read_only
        .address_space:  global
        .offset:         0
        .size:           8
        .value_kind:     global_buffer
      - .actual_access:  read_only
        .address_space:  global
        .offset:         8
        .size:           8
        .value_kind:     global_buffer
      - .actual_access:  read_only
        .address_space:  global
        .offset:         16
        .size:           8
        .value_kind:     global_buffer
      - .actual_access:  read_only
        .address_space:  global
        .offset:         24
        .size:           8
        .value_kind:     global_buffer
      - .actual_access:  read_only
        .address_space:  global
        .offset:         32
        .size:           8
        .value_kind:     global_buffer
      - .offset:         40
        .size:           8
        .value_kind:     by_value
      - .address_space:  global
        .offset:         48
        .size:           8
        .value_kind:     global_buffer
      - .address_space:  global
        .offset:         56
        .size:           8
        .value_kind:     global_buffer
      - .address_space:  global
        .offset:         64
        .size:           8
        .value_kind:     global_buffer
      - .address_space:  global
        .offset:         72
        .size:           8
        .value_kind:     global_buffer
      - .offset:         80
        .size:           4
        .value_kind:     by_value
      - .address_space:  global
        .offset:         88
        .size:           8
        .value_kind:     global_buffer
      - .address_space:  global
        .offset:         96
        .size:           8
        .value_kind:     global_buffer
    .group_segment_fixed_size: 9720
    .kernarg_segment_align: 8
    .kernarg_segment_size: 104
    .language:       OpenCL C
    .language_version:
      - 2
      - 0
    .max_flat_workgroup_size: 243
    .name:           bluestein_single_back_len1215_dim1_sp_op_CI_CI
    .private_segment_fixed_size: 0
    .sgpr_count:     24
    .sgpr_spill_count: 0
    .symbol:         bluestein_single_back_len1215_dim1_sp_op_CI_CI.kd
    .uniform_work_group_size: 1
    .uses_dynamic_stack: false
    .vgpr_count:     100
    .vgpr_spill_count: 0
    .wavefront_size: 64
amdhsa.target:   amdgcn-amd-amdhsa--gfx950
amdhsa.version:
  - 1
  - 2
...

	.end_amdgpu_metadata
